;; amdgpu-corpus repo=zjin-lcf/HeCBench kind=compiled arch=gfx1030 opt=O3
	.amdgcn_target "amdgcn-amd-amdhsa--gfx1030"
	.amdhsa_code_object_version 6
	.text
	.protected	_Z15benchmark_shmemP15HIP_vector_typeIfLj4EE ; -- Begin function _Z15benchmark_shmemP15HIP_vector_typeIfLj4EE
	.globl	_Z15benchmark_shmemP15HIP_vector_typeIfLj4EE
	.p2align	8
	.type	_Z15benchmark_shmemP15HIP_vector_typeIfLj4EE,@function
_Z15benchmark_shmemP15HIP_vector_typeIfLj4EE: ; @_Z15benchmark_shmemP15HIP_vector_typeIfLj4EE
; %bb.0:
	s_load_dword s0, s[4:5], 0x14
	v_add_nc_u32_e32 v2, 11, v0
	v_add_nc_u32_e32 v5, 19, v0
	;; [unrolled: 1-line block ×3, first 2 shown]
	v_lshlrev_b32_e32 v1, 4, v0
	v_add_nc_u32_e32 v7, 1, v0
	v_add_nc_u32_e32 v8, 12, v0
	;; [unrolled: 1-line block ×4, first 2 shown]
	v_cvt_f32_u32_e32 v3, v0
	v_cvt_f32_u32_e32 v4, v2
	;; [unrolled: 1-line block ×8, first 2 shown]
	v_add_nc_u32_e32 v14, 26, v0
	v_add_nc_u32_e32 v11, 3, v0
	;; [unrolled: 1-line block ×3, first 2 shown]
	s_waitcnt lgkmcnt(0)
	s_and_b32 s0, s0, 0xffff
	v_add_nc_u32_e32 v13, 22, v0
	s_lshl_b32 s1, s0, 4
	s_lshl_b32 s2, s0, 5
	v_add_nc_u32_e32 v2, s1, v1
	v_cvt_f32_u32_e32 v14, v14
	v_add_nc_u32_e32 v25, 40, v0
	v_cvt_f32_u32_e32 v11, v11
	ds_write_b128 v1, v[3:6]
	ds_write_b128 v2, v[7:10]
	v_add_nc_u32_e32 v7, 36, v0
	v_add_nc_u32_e32 v6, 30, v0
	;; [unrolled: 1-line block ×5, first 2 shown]
	v_cvt_f32_u32_e32 v22, v7
	v_add_nc_u32_e32 v7, s1, v2
	v_cvt_f32_u32_e32 v18, v6
	v_add_nc_u32_e32 v6, 32, v0
	v_cvt_f32_u32_e32 v16, v5
	v_add_nc_u32_e32 v5, 13, v0
	v_add_nc_u32_e32 v8, s1, v7
	v_cvt_f32_u32_e32 v24, v9
	v_cvt_f32_u32_e32 v21, v6
	v_add_nc_u32_e32 v6, 17, v0
	v_add_nc_u32_e32 v3, s2, v1
	;; [unrolled: 1-line block ×3, first 2 shown]
	s_add_i32 s2, s2, s1
	v_cvt_f32_u32_e32 v15, v4
	v_add_nc_u32_e32 v4, s2, v1
	s_add_i32 s2, s2, s1
	v_cvt_f32_u32_e32 v12, v12
	v_cvt_f32_u32_e32 v13, v13
	v_cvt_f32_u32_e32 v19, v5
	v_add_nc_u32_e32 v5, s2, v1
	v_mov_b32_e32 v20, v10
	v_cvt_f32_u32_e32 v23, v6
	v_add3_u32 v6, s2, s1, v1
	v_add_nc_u32_e32 v10, s1, v9
	v_mov_b32_e32 v17, v14
	v_cvt_f32_u32_e32 v26, v25
	v_mov_b32_e32 v25, v22
	s_movk_i32 s1, 0x400
	ds_write_b128 v3, v[11:14]
	ds_write_b128 v4, v[15:18]
	;; [unrolled: 1-line block ×4, first 2 shown]
	s_waitcnt lgkmcnt(0)
	s_barrier
	buffer_gl0_inv
.LBB0_1:                                ; =>This Inner Loop Header: Depth=1
	ds_read_b128 v[11:14], v1
	ds_read_b128 v[15:18], v2
	s_sub_i32 s1, s1, 32
	s_waitcnt lgkmcnt(1)
	ds_write_b128 v2, v[11:14]
	s_waitcnt lgkmcnt(1)
	ds_write_b128 v1, v[15:18]
	ds_read_b128 v[11:14], v7
	ds_read_b128 v[15:18], v8
	s_cmp_eq_u32 s1, 0
	s_waitcnt lgkmcnt(1)
	ds_write_b128 v8, v[11:14]
	s_waitcnt lgkmcnt(1)
	ds_write_b128 v7, v[15:18]
	ds_read_b128 v[11:14], v9
	ds_read_b128 v[15:18], v10
	s_waitcnt lgkmcnt(1)
	ds_write_b128 v10, v[11:14]
	s_waitcnt lgkmcnt(1)
	ds_write_b128 v9, v[15:18]
	s_waitcnt lgkmcnt(0)
	s_barrier
	buffer_gl0_inv
	ds_read_b128 v[11:14], v2
	ds_read_b128 v[15:18], v7
	s_waitcnt lgkmcnt(1)
	ds_write_b128 v7, v[11:14]
	s_waitcnt lgkmcnt(1)
	ds_write_b128 v2, v[15:18]
	ds_read_b128 v[11:14], v8
	ds_read_b128 v[15:18], v9
	s_waitcnt lgkmcnt(1)
	ds_write_b128 v9, v[11:14]
	s_waitcnt lgkmcnt(1)
	ds_write_b128 v8, v[15:18]
	s_waitcnt lgkmcnt(0)
	s_barrier
	buffer_gl0_inv
	ds_read_b128 v[11:14], v1
	ds_read_b128 v[15:18], v2
	s_waitcnt lgkmcnt(1)
	ds_write_b128 v2, v[11:14]
	s_waitcnt lgkmcnt(1)
	ds_write_b128 v1, v[15:18]
	ds_read_b128 v[11:14], v7
	ds_read_b128 v[15:18], v8
	s_waitcnt lgkmcnt(1)
	ds_write_b128 v8, v[11:14]
	s_waitcnt lgkmcnt(1)
	ds_write_b128 v7, v[15:18]
	ds_read_b128 v[11:14], v9
	ds_read_b128 v[15:18], v10
	s_waitcnt lgkmcnt(1)
	ds_write_b128 v10, v[11:14]
	s_waitcnt lgkmcnt(1)
	ds_write_b128 v9, v[15:18]
	s_waitcnt lgkmcnt(0)
	s_barrier
	buffer_gl0_inv
	ds_read_b128 v[11:14], v2
	ds_read_b128 v[15:18], v7
	s_waitcnt lgkmcnt(1)
	ds_write_b128 v7, v[11:14]
	s_waitcnt lgkmcnt(1)
	ds_write_b128 v2, v[15:18]
	ds_read_b128 v[11:14], v8
	ds_read_b128 v[15:18], v9
	s_waitcnt lgkmcnt(1)
	ds_write_b128 v9, v[11:14]
	s_waitcnt lgkmcnt(1)
	ds_write_b128 v8, v[15:18]
	s_waitcnt lgkmcnt(0)
	s_barrier
	buffer_gl0_inv
	ds_read_b128 v[11:14], v1
	ds_read_b128 v[15:18], v2
	s_waitcnt lgkmcnt(1)
	ds_write_b128 v2, v[11:14]
	s_waitcnt lgkmcnt(1)
	ds_write_b128 v1, v[15:18]
	ds_read_b128 v[11:14], v7
	ds_read_b128 v[15:18], v8
	;; [unrolled: 36-line block ×31, first 2 shown]
	s_waitcnt lgkmcnt(1)
	ds_write_b128 v8, v[11:14]
	s_waitcnt lgkmcnt(1)
	ds_write_b128 v7, v[15:18]
	ds_read_b128 v[11:14], v9
	ds_read_b128 v[15:18], v10
	s_waitcnt lgkmcnt(1)
	ds_write_b128 v10, v[11:14]
	s_waitcnt lgkmcnt(1)
	ds_write_b128 v9, v[15:18]
	s_waitcnt lgkmcnt(0)
	s_barrier
	buffer_gl0_inv
	ds_read_b128 v[11:14], v2
	ds_read_b128 v[15:18], v7
	s_waitcnt lgkmcnt(1)
	ds_write_b128 v7, v[11:14]
	s_waitcnt lgkmcnt(1)
	ds_write_b128 v2, v[15:18]
	ds_read_b128 v[11:14], v8
	ds_read_b128 v[15:18], v9
	s_waitcnt lgkmcnt(1)
	ds_write_b128 v9, v[11:14]
	s_waitcnt lgkmcnt(1)
	ds_write_b128 v8, v[15:18]
	s_waitcnt lgkmcnt(0)
	s_barrier
	buffer_gl0_inv
	s_cbranch_scc0 .LBB0_1
; %bb.2:
	ds_read_b128 v[7:10], v1
	ds_read_b128 v[11:14], v2
	;; [unrolled: 1-line block ×5, first 2 shown]
	s_load_dwordx2 s[2:3], s[4:5], 0x0
	ds_read_b128 v[23:26], v6
	s_waitcnt lgkmcnt(0)
	v_add_f32_e32 v9, v9, v13
	v_add_f32_e32 v10, v10, v14
	v_mad_u64_u32 v[5:6], null, s6, s0, v[0:1]
	v_add_f32_e32 v8, v8, v12
	v_add_f32_e32 v7, v7, v11
	;; [unrolled: 1-line block ×7, first 2 shown]
	v_ashrrev_i32_e32 v6, 31, v5
	v_add_f32_e32 v0, v0, v4
	v_add_f32_e32 v2, v8, v2
	;; [unrolled: 1-line block ×4, first 2 shown]
	v_lshlrev_b64 v[4:5], 4, v[5:6]
	v_add_f32_e32 v0, v0, v22
	v_add_f32_e32 v8, v2, v20
	;; [unrolled: 1-line block ×4, first 2 shown]
	v_add_co_u32 v4, vcc_lo, s2, v4
	v_add_f32_e32 v3, v0, v26
	v_add_f32_e32 v1, v8, v24
	;; [unrolled: 1-line block ×3, first 2 shown]
	v_add_co_ci_u32_e64 v5, null, s3, v5, vcc_lo
	global_store_dwordx4 v[4:5], v[0:3], off
	s_endpgm
	.section	.rodata,"a",@progbits
	.p2align	6, 0x0
	.amdhsa_kernel _Z15benchmark_shmemP15HIP_vector_typeIfLj4EE
		.amdhsa_group_segment_fixed_size 24576
		.amdhsa_private_segment_fixed_size 0
		.amdhsa_kernarg_size 264
		.amdhsa_user_sgpr_count 6
		.amdhsa_user_sgpr_private_segment_buffer 1
		.amdhsa_user_sgpr_dispatch_ptr 0
		.amdhsa_user_sgpr_queue_ptr 0
		.amdhsa_user_sgpr_kernarg_segment_ptr 1
		.amdhsa_user_sgpr_dispatch_id 0
		.amdhsa_user_sgpr_flat_scratch_init 0
		.amdhsa_user_sgpr_private_segment_size 0
		.amdhsa_wavefront_size32 1
		.amdhsa_uses_dynamic_stack 0
		.amdhsa_system_sgpr_private_segment_wavefront_offset 0
		.amdhsa_system_sgpr_workgroup_id_x 1
		.amdhsa_system_sgpr_workgroup_id_y 0
		.amdhsa_system_sgpr_workgroup_id_z 0
		.amdhsa_system_sgpr_workgroup_info 0
		.amdhsa_system_vgpr_workitem_id 0
		.amdhsa_next_free_vgpr 27
		.amdhsa_next_free_sgpr 7
		.amdhsa_reserve_vcc 1
		.amdhsa_reserve_flat_scratch 0
		.amdhsa_float_round_mode_32 0
		.amdhsa_float_round_mode_16_64 0
		.amdhsa_float_denorm_mode_32 3
		.amdhsa_float_denorm_mode_16_64 3
		.amdhsa_dx10_clamp 1
		.amdhsa_ieee_mode 1
		.amdhsa_fp16_overflow 0
		.amdhsa_workgroup_processor_mode 1
		.amdhsa_memory_ordered 1
		.amdhsa_forward_progress 1
		.amdhsa_shared_vgpr_count 0
		.amdhsa_exception_fp_ieee_invalid_op 0
		.amdhsa_exception_fp_denorm_src 0
		.amdhsa_exception_fp_ieee_div_zero 0
		.amdhsa_exception_fp_ieee_overflow 0
		.amdhsa_exception_fp_ieee_underflow 0
		.amdhsa_exception_fp_ieee_inexact 0
		.amdhsa_exception_int_div_zero 0
	.end_amdhsa_kernel
	.text
.Lfunc_end0:
	.size	_Z15benchmark_shmemP15HIP_vector_typeIfLj4EE, .Lfunc_end0-_Z15benchmark_shmemP15HIP_vector_typeIfLj4EE
                                        ; -- End function
	.set _Z15benchmark_shmemP15HIP_vector_typeIfLj4EE.num_vgpr, 27
	.set _Z15benchmark_shmemP15HIP_vector_typeIfLj4EE.num_agpr, 0
	.set _Z15benchmark_shmemP15HIP_vector_typeIfLj4EE.numbered_sgpr, 7
	.set _Z15benchmark_shmemP15HIP_vector_typeIfLj4EE.num_named_barrier, 0
	.set _Z15benchmark_shmemP15HIP_vector_typeIfLj4EE.private_seg_size, 0
	.set _Z15benchmark_shmemP15HIP_vector_typeIfLj4EE.uses_vcc, 1
	.set _Z15benchmark_shmemP15HIP_vector_typeIfLj4EE.uses_flat_scratch, 0
	.set _Z15benchmark_shmemP15HIP_vector_typeIfLj4EE.has_dyn_sized_stack, 0
	.set _Z15benchmark_shmemP15HIP_vector_typeIfLj4EE.has_recursion, 0
	.set _Z15benchmark_shmemP15HIP_vector_typeIfLj4EE.has_indirect_call, 0
	.section	.AMDGPU.csdata,"",@progbits
; Kernel info:
; codeLenInByte = 7948
; TotalNumSgprs: 9
; NumVgprs: 27
; ScratchSize: 0
; MemoryBound: 1
; FloatMode: 240
; IeeeMode: 1
; LDSByteSize: 24576 bytes/workgroup (compile time only)
; SGPRBlocks: 0
; VGPRBlocks: 3
; NumSGPRsForWavesPerEU: 9
; NumVGPRsForWavesPerEU: 27
; Occupancy: 16
; WaveLimiterHint : 1
; COMPUTE_PGM_RSRC2:SCRATCH_EN: 0
; COMPUTE_PGM_RSRC2:USER_SGPR: 6
; COMPUTE_PGM_RSRC2:TRAP_HANDLER: 0
; COMPUTE_PGM_RSRC2:TGID_X_EN: 1
; COMPUTE_PGM_RSRC2:TGID_Y_EN: 0
; COMPUTE_PGM_RSRC2:TGID_Z_EN: 0
; COMPUTE_PGM_RSRC2:TIDIG_COMP_CNT: 0
	.text
	.p2alignl 6, 3214868480
	.fill 48, 4, 3214868480
	.section	.AMDGPU.gpr_maximums,"",@progbits
	.set amdgpu.max_num_vgpr, 0
	.set amdgpu.max_num_agpr, 0
	.set amdgpu.max_num_sgpr, 0
	.text
	.type	__hip_cuid_bff48a07b2250585,@object ; @__hip_cuid_bff48a07b2250585
	.section	.bss,"aw",@nobits
	.globl	__hip_cuid_bff48a07b2250585
__hip_cuid_bff48a07b2250585:
	.byte	0                               ; 0x0
	.size	__hip_cuid_bff48a07b2250585, 1

	.ident	"AMD clang version 22.0.0git (https://github.com/RadeonOpenCompute/llvm-project roc-7.2.4 26084 f58b06dce1f9c15707c5f808fd002e18c2accf7e)"
	.section	".note.GNU-stack","",@progbits
	.addrsig
	.addrsig_sym __hip_cuid_bff48a07b2250585
	.amdgpu_metadata
---
amdhsa.kernels:
  - .args:
      - .address_space:  global
        .offset:         0
        .size:           8
        .value_kind:     global_buffer
      - .offset:         8
        .size:           4
        .value_kind:     hidden_block_count_x
      - .offset:         12
        .size:           4
        .value_kind:     hidden_block_count_y
      - .offset:         16
        .size:           4
        .value_kind:     hidden_block_count_z
      - .offset:         20
        .size:           2
        .value_kind:     hidden_group_size_x
      - .offset:         22
        .size:           2
        .value_kind:     hidden_group_size_y
      - .offset:         24
        .size:           2
        .value_kind:     hidden_group_size_z
      - .offset:         26
        .size:           2
        .value_kind:     hidden_remainder_x
      - .offset:         28
        .size:           2
        .value_kind:     hidden_remainder_y
      - .offset:         30
        .size:           2
        .value_kind:     hidden_remainder_z
      - .offset:         48
        .size:           8
        .value_kind:     hidden_global_offset_x
      - .offset:         56
        .size:           8
        .value_kind:     hidden_global_offset_y
      - .offset:         64
        .size:           8
        .value_kind:     hidden_global_offset_z
      - .offset:         72
        .size:           2
        .value_kind:     hidden_grid_dims
    .group_segment_fixed_size: 24576
    .kernarg_segment_align: 8
    .kernarg_segment_size: 264
    .language:       OpenCL C
    .language_version:
      - 2
      - 0
    .max_flat_workgroup_size: 1024
    .name:           _Z15benchmark_shmemP15HIP_vector_typeIfLj4EE
    .private_segment_fixed_size: 0
    .sgpr_count:     9
    .sgpr_spill_count: 0
    .symbol:         _Z15benchmark_shmemP15HIP_vector_typeIfLj4EE.kd
    .uniform_work_group_size: 1
    .uses_dynamic_stack: false
    .vgpr_count:     27
    .vgpr_spill_count: 0
    .wavefront_size: 32
    .workgroup_processor_mode: 1
amdhsa.target:   amdgcn-amd-amdhsa--gfx1030
amdhsa.version:
  - 1
  - 2
...

	.end_amdgpu_metadata
